;; amdgpu-corpus repo=ROCm/rocFFT kind=compiled arch=gfx906 opt=O3
	.text
	.amdgcn_target "amdgcn-amd-amdhsa--gfx906"
	.amdhsa_code_object_version 6
	.protected	bluestein_single_back_len448_dim1_dp_op_CI_CI ; -- Begin function bluestein_single_back_len448_dim1_dp_op_CI_CI
	.globl	bluestein_single_back_len448_dim1_dp_op_CI_CI
	.p2align	8
	.type	bluestein_single_back_len448_dim1_dp_op_CI_CI,@function
bluestein_single_back_len448_dim1_dp_op_CI_CI: ; @bluestein_single_back_len448_dim1_dp_op_CI_CI
; %bb.0:
	s_load_dwordx4 s[0:3], s[4:5], 0x28
	v_lshrrev_b32_e32 v1, 6, v0
	v_lshl_or_b32 v84, s6, 1, v1
	v_mov_b32_e32 v85, 0
	s_waitcnt lgkmcnt(0)
	v_cmp_gt_u64_e32 vcc, s[0:1], v[84:85]
	s_and_saveexec_b64 s[0:1], vcc
	s_cbranch_execz .LBB0_23
; %bb.1:
	s_load_dwordx2 s[14:15], s[4:5], 0x0
	s_load_dwordx2 s[12:13], s[4:5], 0x38
	v_and_b32_e32 v97, 63, v0
	v_and_b32_e32 v0, 1, v1
	v_mov_b32_e32 v1, 0x1c0
	v_cmp_eq_u32_e32 vcc, 1, v0
	v_cndmask_b32_e32 v98, 0, v1, vcc
	v_cmp_gt_u32_e64 s[0:1], 56, v97
	v_lshlrev_b32_e32 v99, 4, v97
	v_or_b32_e32 v40, v98, v97
	s_and_saveexec_b64 s[6:7], s[0:1]
	s_cbranch_execz .LBB0_3
; %bb.2:
	s_load_dwordx2 s[8:9], s[4:5], 0x18
	v_lshlrev_b32_e32 v81, 4, v40
	s_waitcnt lgkmcnt(0)
	s_load_dwordx4 s[8:11], s[8:9], 0x0
	s_waitcnt lgkmcnt(0)
	v_mad_u64_u32 v[0:1], s[16:17], s10, v84, 0
	v_mad_u64_u32 v[2:3], s[16:17], s8, v97, 0
	;; [unrolled: 1-line block ×4, first 2 shown]
	v_mov_b32_e32 v1, v4
	v_lshlrev_b64 v[0:1], 4, v[0:1]
	v_mov_b32_e32 v3, v5
	v_mov_b32_e32 v6, s3
	v_lshlrev_b64 v[2:3], 4, v[2:3]
	v_add_co_u32_e32 v0, vcc, s2, v0
	v_addc_co_u32_e32 v1, vcc, v6, v1, vcc
	v_add_co_u32_e32 v16, vcc, v0, v2
	v_addc_co_u32_e32 v17, vcc, v1, v3, vcc
	v_mov_b32_e32 v0, s15
	v_add_co_u32_e32 v47, vcc, s14, v99
	s_mul_i32 s2, s9, 0x380
	s_mul_hi_u32 s3, s8, 0x380
	v_addc_co_u32_e32 v48, vcc, 0, v0, vcc
	s_add_i32 s2, s3, s2
	s_mul_i32 s3, s8, 0x380
	v_mov_b32_e32 v0, s2
	v_add_co_u32_e32 v18, vcc, s3, v16
	v_addc_co_u32_e32 v19, vcc, v17, v0, vcc
	global_load_dwordx4 v[0:3], v[16:17], off
	global_load_dwordx4 v[4:7], v[18:19], off
	global_load_dwordx4 v[8:11], v99, s[14:15]
	global_load_dwordx4 v[12:15], v99, s[14:15] offset:896
	v_mov_b32_e32 v16, s2
	v_add_co_u32_e32 v32, vcc, s3, v18
	v_addc_co_u32_e32 v33, vcc, v19, v16, vcc
	v_add_co_u32_e32 v34, vcc, s3, v32
	v_addc_co_u32_e32 v35, vcc, v33, v16, vcc
	global_load_dwordx4 v[16:19], v[32:33], off
	global_load_dwordx4 v[20:23], v[34:35], off
	global_load_dwordx4 v[24:27], v99, s[14:15] offset:1792
	global_load_dwordx4 v[28:31], v99, s[14:15] offset:2688
	v_mov_b32_e32 v32, s2
	v_add_co_u32_e32 v41, vcc, s3, v34
	v_addc_co_u32_e32 v42, vcc, v35, v32, vcc
	v_mov_b32_e32 v43, s2
	v_add_co_u32_e32 v45, vcc, s3, v41
	v_addc_co_u32_e32 v46, vcc, v42, v43, vcc
	s_movk_i32 s8, 0x1000
	v_add_co_u32_e32 v65, vcc, s8, v47
	v_addc_co_u32_e32 v66, vcc, 0, v48, vcc
	global_load_dwordx4 v[32:35], v[41:42], off
	global_load_dwordx4 v[36:39], v99, s[14:15] offset:3584
	v_mov_b32_e32 v47, s2
	v_add_co_u32_e32 v57, vcc, s3, v45
	global_load_dwordx4 v[41:44], v[45:46], off
	v_addc_co_u32_e32 v58, vcc, v46, v47, vcc
	global_load_dwordx4 v[45:48], v[57:58], off
	global_load_dwordx4 v[49:52], v[65:66], off offset:384
	global_load_dwordx4 v[53:56], v[65:66], off offset:1280
	v_mov_b32_e32 v59, s2
	v_add_co_u32_e32 v67, vcc, s3, v57
	v_addc_co_u32_e32 v68, vcc, v58, v59, vcc
	global_load_dwordx4 v[57:60], v[65:66], off offset:2176
	global_load_dwordx4 v[61:64], v[67:68], off
	s_waitcnt vmcnt(13)
	v_mul_f64 v[65:66], v[2:3], v[10:11]
	v_mul_f64 v[10:11], v[0:1], v[10:11]
	s_waitcnt vmcnt(12)
	v_mul_f64 v[67:68], v[6:7], v[14:15]
	v_mul_f64 v[14:15], v[4:5], v[14:15]
	v_fma_f64 v[0:1], v[0:1], v[8:9], v[65:66]
	v_fma_f64 v[2:3], v[2:3], v[8:9], -v[10:11]
	s_waitcnt vmcnt(9)
	v_mul_f64 v[69:70], v[18:19], v[26:27]
	v_mul_f64 v[26:27], v[16:17], v[26:27]
	s_waitcnt vmcnt(8)
	v_mul_f64 v[71:72], v[22:23], v[30:31]
	v_mul_f64 v[30:31], v[20:21], v[30:31]
	v_fma_f64 v[4:5], v[4:5], v[12:13], v[67:68]
	v_fma_f64 v[6:7], v[6:7], v[12:13], -v[14:15]
	ds_write_b128 v81, v[0:3]
	v_fma_f64 v[8:9], v[16:17], v[24:25], v[69:70]
	v_fma_f64 v[10:11], v[18:19], v[24:25], -v[26:27]
	v_fma_f64 v[12:13], v[20:21], v[28:29], v[71:72]
	v_fma_f64 v[14:15], v[22:23], v[28:29], -v[30:31]
	v_lshl_add_u32 v28, v98, 4, v99
	s_waitcnt vmcnt(6)
	v_mul_f64 v[73:74], v[34:35], v[38:39]
	v_mul_f64 v[38:39], v[32:33], v[38:39]
	s_waitcnt vmcnt(3)
	v_mul_f64 v[75:76], v[43:44], v[51:52]
	v_mul_f64 v[51:52], v[41:42], v[51:52]
	s_waitcnt vmcnt(2)
	v_mul_f64 v[77:78], v[47:48], v[55:56]
	v_mul_f64 v[55:56], v[45:46], v[55:56]
	v_fma_f64 v[16:17], v[32:33], v[36:37], v[73:74]
	v_fma_f64 v[18:19], v[34:35], v[36:37], -v[38:39]
	s_waitcnt vmcnt(0)
	v_mul_f64 v[79:80], v[63:64], v[59:60]
	v_mul_f64 v[59:60], v[61:62], v[59:60]
	v_fma_f64 v[20:21], v[41:42], v[49:50], v[75:76]
	v_fma_f64 v[22:23], v[43:44], v[49:50], -v[51:52]
	v_fma_f64 v[24:25], v[45:46], v[53:54], v[77:78]
	v_fma_f64 v[26:27], v[47:48], v[53:54], -v[55:56]
	;; [unrolled: 2-line block ×3, first 2 shown]
	ds_write_b128 v28, v[4:7] offset:896
	ds_write_b128 v28, v[8:11] offset:1792
	;; [unrolled: 1-line block ×7, first 2 shown]
.LBB0_3:
	s_or_b64 exec, exec, s[6:7]
	s_load_dwordx2 s[6:7], s[4:5], 0x20
	s_load_dwordx2 s[2:3], s[4:5], 0x8
	v_lshlrev_b32_e32 v100, 4, v98
	s_waitcnt lgkmcnt(0)
	s_barrier
	s_waitcnt lgkmcnt(0)
                                        ; implicit-def: $vgpr0_vgpr1
                                        ; implicit-def: $vgpr4_vgpr5
                                        ; implicit-def: $vgpr20_vgpr21
                                        ; implicit-def: $vgpr28_vgpr29
                                        ; implicit-def: $vgpr24_vgpr25
                                        ; implicit-def: $vgpr16_vgpr17
                                        ; implicit-def: $vgpr12_vgpr13
                                        ; implicit-def: $vgpr8_vgpr9
	s_and_saveexec_b64 s[4:5], s[0:1]
	s_cbranch_execz .LBB0_5
; %bb.4:
	v_lshlrev_b32_e32 v0, 4, v40
	v_lshl_add_u32 v28, v97, 4, v100
	ds_read_b128 v[0:3], v0
	ds_read_b128 v[8:11], v28 offset:896
	ds_read_b128 v[4:7], v28 offset:1792
	;; [unrolled: 1-line block ×7, first 2 shown]
.LBB0_5:
	s_or_b64 exec, exec, s[4:5]
	s_waitcnt lgkmcnt(3)
	v_add_f64 v[32:33], v[0:1], -v[16:17]
	v_add_f64 v[34:35], v[2:3], -v[18:19]
	s_waitcnt lgkmcnt(1)
	v_add_f64 v[36:37], v[4:5], -v[24:25]
	v_add_f64 v[38:39], v[6:7], -v[26:27]
	;; [unrolled: 1-line block ×4, first 2 shown]
	s_waitcnt lgkmcnt(0)
	v_add_f64 v[30:31], v[14:15], -v[30:31]
	v_add_f64 v[28:29], v[12:13], -v[28:29]
	s_mov_b32 s8, 0x667f3bcd
	s_mov_b32 s9, 0x3fe6a09e
	v_add_f64 v[18:19], v[36:37], v[34:35]
	v_add_f64 v[16:17], v[32:33], -v[38:39]
	s_mov_b32 s11, 0xbfe6a09e
	s_mov_b32 s10, s8
	v_add_f64 v[24:25], v[20:21], -v[30:31]
	v_add_f64 v[26:27], v[28:29], v[22:23]
	v_lshlrev_b32_e32 v102, 3, v97
	s_barrier
	v_fma_f64 v[41:42], v[24:25], s[8:9], v[16:17]
	v_fma_f64 v[43:44], v[26:27], s[8:9], v[18:19]
	;; [unrolled: 1-line block ×4, first 2 shown]
	s_and_saveexec_b64 s[4:5], s[0:1]
	s_cbranch_execz .LBB0_7
; %bb.6:
	v_fma_f64 v[2:3], v[2:3], 2.0, -v[34:35]
	v_fma_f64 v[6:7], v[6:7], 2.0, -v[38:39]
	;; [unrolled: 1-line block ×12, first 2 shown]
	v_add_f64 v[26:27], v[2:3], -v[6:7]
	v_add_f64 v[6:7], v[10:11], -v[14:15]
	;; [unrolled: 1-line block ×4, first 2 shown]
	v_fma_f64 v[12:13], v[22:23], s[10:11], v[28:29]
	v_fma_f64 v[14:15], v[20:21], s[10:11], v[24:25]
	v_fma_f64 v[32:33], v[2:3], 2.0, -v[26:27]
	v_fma_f64 v[10:11], v[10:11], 2.0, -v[6:7]
	;; [unrolled: 1-line block ×4, first 2 shown]
	v_add_f64 v[2:3], v[26:27], v[4:5]
	v_add_f64 v[0:1], v[30:31], -v[6:7]
	v_fma_f64 v[6:7], v[20:21], s[8:9], v[12:13]
	v_fma_f64 v[4:5], v[22:23], s[10:11], v[14:15]
	v_fma_f64 v[14:15], v[18:19], 2.0, -v[54:55]
	v_add_f64 v[10:11], v[32:33], -v[10:11]
	v_fma_f64 v[12:13], v[16:17], 2.0, -v[52:53]
	v_add_f64 v[8:9], v[34:35], -v[8:9]
	v_fma_f64 v[18:19], v[26:27], 2.0, -v[2:3]
	v_fma_f64 v[16:17], v[30:31], 2.0, -v[0:1]
	;; [unrolled: 1-line block ×4, first 2 shown]
	v_add_lshl_u32 v28, v98, v102, 4
	v_fma_f64 v[26:27], v[32:33], 2.0, -v[10:11]
	v_fma_f64 v[24:25], v[34:35], 2.0, -v[8:9]
	ds_write_b128 v28, v[12:15] offset:48
	ds_write_b128 v28, v[20:23] offset:16
	;; [unrolled: 1-line block ×3, first 2 shown]
	ds_write_b128 v28, v[24:27]
	ds_write_b128 v28, v[8:11] offset:64
	ds_write_b128 v28, v[4:7] offset:80
	;; [unrolled: 1-line block ×4, first 2 shown]
.LBB0_7:
	s_or_b64 exec, exec, s[4:5]
	v_and_b32_e32 v56, 7, v97
	v_mul_u32_u24_e32 v0, 6, v56
	v_lshlrev_b32_e32 v24, 4, v0
	s_load_dwordx4 s[4:7], s[6:7], 0x0
	s_waitcnt lgkmcnt(0)
	s_barrier
	global_load_dwordx4 v[12:15], v24, s[2:3]
	global_load_dwordx4 v[8:11], v24, s[2:3] offset:16
	global_load_dwordx4 v[4:7], v24, s[2:3] offset:32
	;; [unrolled: 1-line block ×5, first 2 shown]
	v_lshlrev_b32_e32 v101, 4, v40
	ds_read_b128 v[24:27], v101
	ds_read_b128 v[28:31], v101 offset:1024
	ds_read_b128 v[32:35], v101 offset:2048
	ds_read_b128 v[36:39], v101 offset:3072
	ds_read_b128 v[40:43], v101 offset:4096
	ds_read_b128 v[44:47], v101 offset:5120
	ds_read_b128 v[48:51], v101 offset:6144
	v_lshrrev_b32_e32 v57, 3, v97
	v_mul_u32_u24_e32 v57, 56, v57
	v_or_b32_e32 v85, v57, v56
	s_mov_b32 s10, 0x37e14327
	s_mov_b32 s8, 0x36b3c0b5
	;; [unrolled: 1-line block ×16, first 2 shown]
	v_add_lshl_u32 v103, v98, v85, 4
	s_waitcnt vmcnt(0) lgkmcnt(0)
	s_barrier
	v_mul_f64 v[56:57], v[30:31], v[14:15]
	v_mul_f64 v[58:59], v[28:29], v[14:15]
	;; [unrolled: 1-line block ×12, first 2 shown]
	v_fma_f64 v[28:29], v[28:29], v[12:13], -v[56:57]
	v_fma_f64 v[30:31], v[30:31], v[12:13], v[58:59]
	v_fma_f64 v[32:33], v[32:33], v[8:9], -v[60:61]
	v_fma_f64 v[34:35], v[34:35], v[8:9], v[62:63]
	;; [unrolled: 2-line block ×6, first 2 shown]
	v_add_f64 v[56:57], v[28:29], v[48:49]
	v_add_f64 v[58:59], v[30:31], v[50:51]
	v_add_f64 v[28:29], v[28:29], -v[48:49]
	v_add_f64 v[30:31], v[30:31], -v[50:51]
	v_add_f64 v[48:49], v[32:33], v[44:45]
	v_add_f64 v[50:51], v[34:35], v[46:47]
	v_add_f64 v[32:33], v[32:33], -v[44:45]
	v_add_f64 v[34:35], v[34:35], -v[46:47]
	;; [unrolled: 4-line block ×4, first 2 shown]
	v_add_f64 v[56:57], v[56:57], -v[44:45]
	v_add_f64 v[58:59], v[58:59], -v[46:47]
	;; [unrolled: 1-line block ×4, first 2 shown]
	v_add_f64 v[64:65], v[36:37], v[32:33]
	v_add_f64 v[66:67], v[38:39], v[34:35]
	v_add_f64 v[68:69], v[36:37], -v[32:33]
	v_add_f64 v[70:71], v[38:39], -v[34:35]
	;; [unrolled: 1-line block ×4, first 2 shown]
	v_add_f64 v[40:41], v[44:45], v[40:41]
	v_add_f64 v[42:43], v[46:47], v[42:43]
	v_add_f64 v[36:37], v[28:29], -v[36:37]
	v_add_f64 v[38:39], v[30:31], -v[38:39]
	v_add_f64 v[28:29], v[64:65], v[28:29]
	v_add_f64 v[30:31], v[66:67], v[30:31]
	v_mul_f64 v[44:45], v[56:57], s[10:11]
	v_mul_f64 v[46:47], v[58:59], s[10:11]
	;; [unrolled: 1-line block ×8, first 2 shown]
	v_add_f64 v[56:57], v[24:25], v[40:41]
	v_add_f64 v[58:59], v[26:27], v[42:43]
	v_fma_f64 v[24:25], v[48:49], s[8:9], v[44:45]
	v_fma_f64 v[26:27], v[50:51], s[8:9], v[46:47]
	v_fma_f64 v[48:49], v[60:61], s[22:23], -v[64:65]
	v_fma_f64 v[50:51], v[62:63], s[22:23], -v[66:67]
	s_mov_b32 s23, 0xbfe77f67
	v_fma_f64 v[64:65], v[36:37], s[24:25], v[68:69]
	v_fma_f64 v[66:67], v[38:39], s[24:25], v[70:71]
	s_mov_b32 s25, 0xbfd5d0dc
	v_fma_f64 v[32:33], v[32:33], s[16:17], -v[68:69]
	v_fma_f64 v[34:35], v[34:35], s[16:17], -v[70:71]
	;; [unrolled: 1-line block ×6, first 2 shown]
	v_fma_f64 v[40:41], v[40:41], s[18:19], v[56:57]
	v_fma_f64 v[42:43], v[42:43], s[18:19], v[58:59]
	;; [unrolled: 1-line block ×8, first 2 shown]
	v_add_f64 v[24:25], v[24:25], v[40:41]
	v_add_f64 v[26:27], v[26:27], v[42:43]
	;; [unrolled: 1-line block ×7, first 2 shown]
	v_add_f64 v[62:63], v[26:27], -v[82:83]
	v_add_f64 v[64:65], v[30:31], v[36:37]
	v_add_f64 v[66:67], v[38:39], -v[28:29]
	v_add_f64 v[68:69], v[40:41], -v[34:35]
	v_add_f64 v[70:71], v[32:33], v[42:43]
	v_add_f64 v[72:73], v[34:35], v[40:41]
	v_add_f64 v[74:75], v[42:43], -v[32:33]
	v_add_f64 v[76:77], v[36:37], -v[30:31]
	v_add_f64 v[78:79], v[28:29], v[38:39]
	v_add_f64 v[80:81], v[24:25], -v[80:81]
	v_add_f64 v[82:83], v[82:83], v[26:27]
	ds_write_b128 v103, v[56:59]
	ds_write_b128 v103, v[60:63] offset:128
	ds_write_b128 v103, v[64:67] offset:256
	ds_write_b128 v103, v[68:71] offset:384
	ds_write_b128 v103, v[72:75] offset:512
	ds_write_b128 v103, v[76:79] offset:640
	ds_write_b128 v103, v[80:83] offset:768
	s_waitcnt lgkmcnt(0)
	s_barrier
	s_and_saveexec_b64 s[8:9], s[0:1]
	s_cbranch_execz .LBB0_9
; %bb.8:
	ds_read_b128 v[56:59], v101
	ds_read_b128 v[60:63], v101 offset:896
	ds_read_b128 v[64:67], v101 offset:1792
	;; [unrolled: 1-line block ×7, first 2 shown]
.LBB0_9:
	s_or_b64 exec, exec, s[8:9]
	v_subrev_u32_e32 v24, 56, v97
	v_cndmask_b32_e64 v24, v24, v97, s[0:1]
	v_mul_hi_i32_i24_e32 v25, 0x70, v24
	v_mul_i32_i24_e32 v24, 0x70, v24
	v_mov_b32_e32 v26, s3
	v_add_co_u32_e32 v85, vcc, s2, v24
	v_addc_co_u32_e32 v86, vcc, v26, v25, vcc
	global_load_dwordx4 v[36:39], v[85:86], off offset:768
	global_load_dwordx4 v[32:35], v[85:86], off offset:784
	;; [unrolled: 1-line block ×7, first 2 shown]
	s_mov_b32 s2, 0x667f3bcd
	s_mov_b32 s3, 0xbfe6a09e
	;; [unrolled: 1-line block ×4, first 2 shown]
	s_waitcnt vmcnt(6) lgkmcnt(6)
	v_mul_f64 v[85:86], v[62:63], v[38:39]
	v_mul_f64 v[87:88], v[60:61], v[38:39]
	s_waitcnt vmcnt(5) lgkmcnt(5)
	v_mul_f64 v[89:90], v[66:67], v[34:35]
	v_mul_f64 v[91:92], v[64:65], v[34:35]
	;; [unrolled: 3-line block ×7, first 2 shown]
	v_fma_f64 v[60:61], v[60:61], v[36:37], -v[85:86]
	v_fma_f64 v[62:63], v[62:63], v[36:37], v[87:88]
	v_fma_f64 v[64:65], v[64:65], v[32:33], -v[89:90]
	v_fma_f64 v[66:67], v[66:67], v[32:33], v[91:92]
	;; [unrolled: 2-line block ×7, first 2 shown]
	v_add_f64 v[72:73], v[56:57], -v[72:73]
	v_add_f64 v[74:75], v[58:59], -v[74:75]
	;; [unrolled: 1-line block ×8, first 2 shown]
	v_fma_f64 v[56:57], v[56:57], 2.0, -v[72:73]
	v_fma_f64 v[58:59], v[58:59], 2.0, -v[74:75]
	;; [unrolled: 1-line block ×6, first 2 shown]
	v_add_f64 v[85:86], v[72:73], -v[82:83]
	v_add_f64 v[87:88], v[74:75], v[80:81]
	v_fma_f64 v[68:69], v[68:69], 2.0, -v[52:53]
	v_fma_f64 v[70:71], v[70:71], 2.0, -v[54:55]
	v_add_f64 v[54:55], v[76:77], -v[54:55]
	v_add_f64 v[52:53], v[78:79], v[52:53]
	v_add_f64 v[64:65], v[56:57], -v[64:65]
	v_add_f64 v[66:67], v[58:59], -v[66:67]
	v_fma_f64 v[89:90], v[72:73], 2.0, -v[85:86]
	v_fma_f64 v[91:92], v[74:75], 2.0, -v[87:88]
	v_add_f64 v[68:69], v[60:61], -v[68:69]
	v_add_f64 v[70:71], v[62:63], -v[70:71]
	v_fma_f64 v[74:75], v[76:77], 2.0, -v[54:55]
	v_fma_f64 v[72:73], v[78:79], 2.0, -v[52:53]
	v_fma_f64 v[80:81], v[54:55], s[8:9], v[85:86]
	v_fma_f64 v[56:57], v[56:57], 2.0, -v[64:65]
	v_fma_f64 v[58:59], v[58:59], 2.0, -v[66:67]
	v_fma_f64 v[95:96], v[52:53], s[8:9], v[87:88]
	;; [unrolled: 3-line block ×3, first 2 shown]
	v_fma_f64 v[93:94], v[72:73], s[2:3], v[91:92]
	v_add_f64 v[76:77], v[64:65], -v[70:71]
	v_add_f64 v[78:79], v[66:67], v[68:69]
	v_fma_f64 v[80:81], v[52:53], s[2:3], v[80:81]
	v_add_f64 v[68:69], v[56:57], -v[60:61]
	v_add_f64 v[70:71], v[58:59], -v[62:63]
	v_fma_f64 v[72:73], v[72:73], s[2:3], v[82:83]
	v_fma_f64 v[74:75], v[74:75], s[8:9], v[93:94]
	;; [unrolled: 1-line block ×3, first 2 shown]
	v_fma_f64 v[60:61], v[64:65], 2.0, -v[76:77]
	v_fma_f64 v[62:63], v[66:67], 2.0, -v[78:79]
	;; [unrolled: 1-line block ×8, first 2 shown]
	s_and_saveexec_b64 s[2:3], s[0:1]
	s_cbranch_execz .LBB0_11
; %bb.10:
	v_lshl_add_u32 v85, v97, 4, v100
	ds_write_b128 v101, v[56:59]
	ds_write_b128 v85, v[52:55] offset:896
	ds_write_b128 v85, v[60:63] offset:1792
	;; [unrolled: 1-line block ×7, first 2 shown]
.LBB0_11:
	s_or_b64 exec, exec, s[2:3]
	s_waitcnt lgkmcnt(0)
	s_barrier
	s_and_saveexec_b64 s[2:3], s[0:1]
	s_cbranch_execz .LBB0_13
; %bb.12:
	v_add_co_u32_e32 v106, vcc, s14, v99
	v_mov_b32_e32 v85, s15
	v_addc_co_u32_e32 v107, vcc, 0, v85, vcc
	v_add_co_u32_e32 v104, vcc, 0x1c00, v106
	v_addc_co_u32_e32 v105, vcc, 0, v107, vcc
	v_add_co_u32_e32 v89, vcc, 0x1000, v106
	v_addc_co_u32_e32 v90, vcc, 0, v107, vcc
	global_load_dwordx4 v[89:92], v[89:90], off offset:3072
	ds_read_b128 v[85:88], v101
	v_lshl_add_u32 v108, v98, 4, v99
	s_movk_i32 s8, 0x2000
	s_waitcnt vmcnt(0) lgkmcnt(0)
	v_mul_f64 v[93:94], v[87:88], v[91:92]
	v_fma_f64 v[93:94], v[85:86], v[89:90], -v[93:94]
	v_mul_f64 v[85:86], v[85:86], v[91:92]
	v_fma_f64 v[95:96], v[87:88], v[89:90], v[85:86]
	global_load_dwordx4 v[89:92], v[104:105], off offset:896
	ds_write_b128 v101, v[93:96]
	ds_read_b128 v[85:88], v108 offset:896
	s_waitcnt vmcnt(0) lgkmcnt(0)
	v_mul_f64 v[93:94], v[87:88], v[91:92]
	v_fma_f64 v[93:94], v[85:86], v[89:90], -v[93:94]
	v_mul_f64 v[85:86], v[85:86], v[91:92]
	v_fma_f64 v[95:96], v[87:88], v[89:90], v[85:86]
	global_load_dwordx4 v[89:92], v[104:105], off offset:1792
	ds_read_b128 v[85:88], v108 offset:1792
	ds_write_b128 v108, v[93:96] offset:896
	s_waitcnt vmcnt(0) lgkmcnt(1)
	v_mul_f64 v[93:94], v[87:88], v[91:92]
	v_fma_f64 v[93:94], v[85:86], v[89:90], -v[93:94]
	v_mul_f64 v[85:86], v[85:86], v[91:92]
	v_fma_f64 v[95:96], v[87:88], v[89:90], v[85:86]
	global_load_dwordx4 v[89:92], v[104:105], off offset:2688
	ds_read_b128 v[85:88], v108 offset:2688
	ds_write_b128 v108, v[93:96] offset:1792
	;; [unrolled: 8-line block ×3, first 2 shown]
	s_waitcnt vmcnt(0) lgkmcnt(1)
	v_mul_f64 v[93:94], v[87:88], v[91:92]
	v_fma_f64 v[93:94], v[85:86], v[89:90], -v[93:94]
	v_mul_f64 v[85:86], v[85:86], v[91:92]
	v_fma_f64 v[95:96], v[87:88], v[89:90], v[85:86]
	v_add_co_u32_e32 v89, vcc, s8, v106
	v_addc_co_u32_e32 v90, vcc, 0, v107, vcc
	global_load_dwordx4 v[89:92], v[89:90], off offset:3456
	ds_read_b128 v[85:88], v108 offset:4480
	s_movk_i32 s8, 0x3000
	ds_write_b128 v108, v[93:96] offset:3584
	v_add_co_u32_e32 v104, vcc, s8, v106
	v_addc_co_u32_e32 v105, vcc, 0, v107, vcc
	s_waitcnt vmcnt(0) lgkmcnt(1)
	v_mul_f64 v[93:94], v[87:88], v[91:92]
	v_fma_f64 v[93:94], v[85:86], v[89:90], -v[93:94]
	v_mul_f64 v[85:86], v[85:86], v[91:92]
	v_fma_f64 v[95:96], v[87:88], v[89:90], v[85:86]
	global_load_dwordx4 v[89:92], v[104:105], off offset:256
	ds_read_b128 v[85:88], v108 offset:5376
	ds_write_b128 v108, v[93:96] offset:4480
	s_waitcnt vmcnt(0) lgkmcnt(1)
	v_mul_f64 v[93:94], v[87:88], v[91:92]
	v_fma_f64 v[93:94], v[85:86], v[89:90], -v[93:94]
	v_mul_f64 v[85:86], v[85:86], v[91:92]
	v_fma_f64 v[95:96], v[87:88], v[89:90], v[85:86]
	global_load_dwordx4 v[89:92], v[104:105], off offset:1152
	ds_read_b128 v[85:88], v108 offset:6272
	ds_write_b128 v108, v[93:96] offset:5376
	s_waitcnt vmcnt(0) lgkmcnt(1)
	v_mul_f64 v[93:94], v[87:88], v[91:92]
	v_fma_f64 v[93:94], v[85:86], v[89:90], -v[93:94]
	v_mul_f64 v[85:86], v[85:86], v[91:92]
	v_fma_f64 v[95:96], v[87:88], v[89:90], v[85:86]
	ds_write_b128 v108, v[93:96] offset:6272
.LBB0_13:
	s_or_b64 exec, exec, s[2:3]
	s_waitcnt lgkmcnt(0)
	s_barrier
	s_and_saveexec_b64 s[2:3], s[0:1]
	s_cbranch_execz .LBB0_15
; %bb.14:
	v_lshl_add_u32 v80, v97, 4, v100
	ds_read_b128 v[56:59], v101
	ds_read_b128 v[52:55], v80 offset:896
	ds_read_b128 v[60:63], v80 offset:1792
	;; [unrolled: 1-line block ×7, first 2 shown]
.LBB0_15:
	s_or_b64 exec, exec, s[2:3]
	s_waitcnt lgkmcnt(3)
	v_add_f64 v[85:86], v[56:57], -v[68:69]
	v_add_f64 v[87:88], v[58:59], -v[70:71]
	s_waitcnt lgkmcnt(1)
	v_add_f64 v[89:90], v[60:61], -v[76:77]
	v_add_f64 v[95:96], v[62:63], -v[78:79]
	;; [unrolled: 1-line block ×4, first 2 shown]
	s_waitcnt lgkmcnt(0)
	v_add_f64 v[93:94], v[66:67], -v[82:83]
	v_add_f64 v[91:92], v[64:65], -v[80:81]
	s_mov_b32 s8, 0x667f3bcd
	s_mov_b32 s9, 0x3fe6a09e
	v_add_f64 v[74:75], v[87:88], -v[89:90]
	v_add_f64 v[72:73], v[95:96], v[85:86]
	s_mov_b32 s11, 0xbfe6a09e
	s_mov_b32 s10, s8
	v_add_f64 v[80:81], v[93:94], v[76:77]
	v_add_f64 v[82:83], v[78:79], -v[91:92]
	s_barrier
	v_fma_f64 v[68:69], v[80:81], s[8:9], v[72:73]
	v_fma_f64 v[70:71], v[82:83], s[8:9], v[74:75]
	;; [unrolled: 1-line block ×4, first 2 shown]
	s_and_saveexec_b64 s[2:3], s[0:1]
	s_cbranch_execz .LBB0_17
; %bb.16:
	v_fma_f64 v[58:59], v[58:59], 2.0, -v[87:88]
	v_fma_f64 v[62:63], v[62:63], 2.0, -v[95:96]
	;; [unrolled: 1-line block ×12, first 2 shown]
	v_add_f64 v[82:83], v[58:59], -v[62:63]
	v_add_f64 v[62:63], v[54:55], -v[66:67]
	;; [unrolled: 1-line block ×4, first 2 shown]
	v_fma_f64 v[64:65], v[78:79], s[10:11], v[87:88]
	v_fma_f64 v[66:67], v[76:77], s[10:11], v[80:81]
	v_fma_f64 v[89:90], v[58:59], 2.0, -v[82:83]
	v_fma_f64 v[91:92], v[54:55], 2.0, -v[62:63]
	;; [unrolled: 1-line block ×4, first 2 shown]
	v_add_f64 v[54:55], v[82:83], -v[60:61]
	v_fma_f64 v[58:59], v[76:77], s[10:11], v[64:65]
	v_add_f64 v[52:53], v[85:86], v[62:63]
	v_fma_f64 v[56:57], v[78:79], s[8:9], v[66:67]
	v_fma_f64 v[66:67], v[74:75], 2.0, -v[70:71]
	v_add_f64 v[62:63], v[89:90], -v[91:92]
	v_fma_f64 v[64:65], v[72:73], 2.0, -v[68:69]
	v_add_f64 v[60:61], v[93:94], -v[95:96]
	v_fma_f64 v[74:75], v[82:83], 2.0, -v[54:55]
	v_fma_f64 v[78:79], v[87:88], 2.0, -v[58:59]
	;; [unrolled: 1-line block ×4, first 2 shown]
	v_add_lshl_u32 v85, v98, v102, 4
	v_fma_f64 v[82:83], v[89:90], 2.0, -v[62:63]
	v_fma_f64 v[80:81], v[93:94], 2.0, -v[60:61]
	ds_write_b128 v85, v[64:67] offset:48
	ds_write_b128 v85, v[76:79] offset:16
	;; [unrolled: 1-line block ×3, first 2 shown]
	ds_write_b128 v85, v[80:83]
	ds_write_b128 v85, v[60:63] offset:64
	ds_write_b128 v85, v[56:59] offset:80
	;; [unrolled: 1-line block ×4, first 2 shown]
.LBB0_17:
	s_or_b64 exec, exec, s[2:3]
	s_waitcnt lgkmcnt(0)
	s_barrier
	ds_read_b128 v[52:55], v101 offset:1024
	ds_read_b128 v[56:59], v101 offset:2048
	;; [unrolled: 1-line block ×3, first 2 shown]
	ds_read_b128 v[64:67], v101
	ds_read_b128 v[72:75], v101 offset:4096
	ds_read_b128 v[76:79], v101 offset:5120
	;; [unrolled: 1-line block ×3, first 2 shown]
	s_mov_b32 s2, 0x37e14327
	s_waitcnt lgkmcnt(6)
	v_mul_f64 v[85:86], v[14:15], v[54:55]
	v_mul_f64 v[14:15], v[14:15], v[52:53]
	s_waitcnt lgkmcnt(5)
	v_mul_f64 v[87:88], v[10:11], v[58:59]
	v_mul_f64 v[10:11], v[10:11], v[56:57]
	s_mov_b32 s3, 0x3fe948f6
	s_mov_b32 s8, 0xe976ee23
	;; [unrolled: 1-line block ×4, first 2 shown]
	v_fma_f64 v[52:53], v[12:13], v[52:53], v[85:86]
	v_fma_f64 v[12:13], v[12:13], v[54:55], -v[14:15]
	v_fma_f64 v[14:15], v[8:9], v[56:57], v[87:88]
	v_fma_f64 v[8:9], v[8:9], v[58:59], -v[10:11]
	s_waitcnt lgkmcnt(0)
	v_mul_f64 v[10:11], v[18:19], v[82:83]
	v_mul_f64 v[18:19], v[18:19], v[80:81]
	;; [unrolled: 1-line block ×8, first 2 shown]
	v_fma_f64 v[10:11], v[16:17], v[80:81], v[10:11]
	v_fma_f64 v[16:17], v[16:17], v[82:83], -v[18:19]
	v_fma_f64 v[18:19], v[4:5], v[60:61], v[54:55]
	v_fma_f64 v[4:5], v[4:5], v[62:63], -v[6:7]
	;; [unrolled: 2-line block ×4, first 2 shown]
	v_add_f64 v[2:3], v[52:53], v[10:11]
	v_add_f64 v[54:55], v[12:13], v[16:17]
	v_add_f64 v[10:11], v[52:53], -v[10:11]
	v_add_f64 v[12:13], v[12:13], -v[16:17]
	v_add_f64 v[16:17], v[14:15], v[6:7]
	v_add_f64 v[52:53], v[8:9], v[20:21]
	v_add_f64 v[6:7], v[14:15], -v[6:7]
	v_add_f64 v[8:9], v[8:9], -v[20:21]
	;; [unrolled: 4-line block ×4, first 2 shown]
	v_add_f64 v[60:61], v[2:3], -v[14:15]
	v_add_f64 v[54:55], v[54:55], -v[20:21]
	;; [unrolled: 1-line block ×4, first 2 shown]
	v_add_f64 v[62:63], v[0:1], v[8:9]
	v_add_f64 v[2:3], v[18:19], v[6:7]
	v_add_f64 v[72:73], v[18:19], -v[6:7]
	v_add_f64 v[74:75], v[0:1], -v[8:9]
	v_add_f64 v[4:5], v[14:15], v[4:5]
	v_add_f64 v[14:15], v[20:21], v[22:23]
	v_add_f64 v[6:7], v[6:7], -v[10:11]
	v_add_f64 v[8:9], v[8:9], -v[12:13]
	v_mul_f64 v[22:23], v[60:61], s[2:3]
	v_mul_f64 v[54:55], v[54:55], s[2:3]
	s_mov_b32 s2, 0x36b3c0b5
	s_mov_b32 s3, 0x3fac98ee
	v_add_f64 v[20:21], v[12:13], -v[0:1]
	v_add_f64 v[12:13], v[62:63], v[12:13]
	v_mul_f64 v[60:61], v[16:17], s[2:3]
	v_mul_f64 v[62:63], v[52:53], s[2:3]
	v_add_f64 v[18:19], v[10:11], -v[18:19]
	v_add_f64 v[10:11], v[2:3], v[10:11]
	v_add_f64 v[0:1], v[64:65], v[4:5]
	;; [unrolled: 1-line block ×3, first 2 shown]
	v_mul_f64 v[64:65], v[72:73], s[8:9]
	v_mul_f64 v[66:67], v[74:75], s[8:9]
	s_mov_b32 s8, 0x429ad128
	s_mov_b32 s9, 0xbfebfeb5
	v_mul_f64 v[72:73], v[6:7], s[8:9]
	v_mul_f64 v[74:75], v[8:9], s[8:9]
	v_fma_f64 v[16:17], v[16:17], s[2:3], v[22:23]
	v_fma_f64 v[52:53], v[52:53], s[2:3], v[54:55]
	s_mov_b32 s3, 0x3fe77f67
	s_mov_b32 s2, 0x5476071b
	v_fma_f64 v[60:61], v[56:57], s[2:3], -v[60:61]
	v_fma_f64 v[62:63], v[58:59], s[2:3], -v[62:63]
	s_mov_b32 s3, 0xbfe77f67
	v_fma_f64 v[22:23], v[56:57], s[2:3], -v[22:23]
	v_fma_f64 v[54:55], v[58:59], s[2:3], -v[54:55]
	s_mov_b32 s3, 0xbfd5d0dc
	s_mov_b32 s2, 0xb247c609
	;; [unrolled: 1-line block ×3, first 2 shown]
	v_fma_f64 v[56:57], v[18:19], s[2:3], v[64:65]
	v_fma_f64 v[58:59], v[20:21], s[2:3], v[66:67]
	s_mov_b32 s3, 0x3fd5d0dc
	v_fma_f64 v[4:5], v[4:5], s[10:11], v[0:1]
	v_fma_f64 v[14:15], v[14:15], s[10:11], v[2:3]
	v_fma_f64 v[6:7], v[6:7], s[8:9], -v[64:65]
	v_fma_f64 v[8:9], v[8:9], s[8:9], -v[66:67]
	v_fma_f64 v[18:19], v[18:19], s[2:3], -v[72:73]
	v_fma_f64 v[20:21], v[20:21], s[2:3], -v[74:75]
	s_mov_b32 s2, 0x37c3f68c
	s_mov_b32 s3, 0xbfdc38aa
	v_add_f64 v[64:65], v[16:17], v[4:5]
	v_add_f64 v[66:67], v[52:53], v[14:15]
	;; [unrolled: 1-line block ×6, first 2 shown]
	v_fma_f64 v[58:59], v[12:13], s[2:3], v[58:59]
	v_fma_f64 v[56:57], v[10:11], s[2:3], v[56:57]
	;; [unrolled: 1-line block ×6, first 2 shown]
	s_barrier
	v_add_f64 v[4:5], v[58:59], v[64:65]
	v_add_f64 v[6:7], v[66:67], -v[56:57]
	v_add_f64 v[8:9], v[20:21], v[22:23]
	v_add_f64 v[10:11], v[54:55], -v[60:61]
	v_add_f64 v[12:13], v[16:17], -v[18:19]
	v_add_f64 v[14:15], v[62:63], v[52:53]
	v_add_f64 v[16:17], v[18:19], v[16:17]
	v_add_f64 v[18:19], v[52:53], -v[62:63]
	v_add_f64 v[20:21], v[22:23], -v[20:21]
	v_add_f64 v[22:23], v[60:61], v[54:55]
	v_add_f64 v[52:53], v[64:65], -v[58:59]
	v_add_f64 v[54:55], v[56:57], v[66:67]
	ds_write_b128 v103, v[0:3]
	ds_write_b128 v103, v[4:7] offset:128
	ds_write_b128 v103, v[8:11] offset:256
	;; [unrolled: 1-line block ×6, first 2 shown]
	s_waitcnt lgkmcnt(0)
	s_barrier
	s_and_saveexec_b64 s[2:3], s[0:1]
	s_cbranch_execz .LBB0_19
; %bb.18:
	ds_read_b128 v[0:3], v101
	ds_read_b128 v[4:7], v101 offset:896
	ds_read_b128 v[8:11], v101 offset:1792
	;; [unrolled: 1-line block ×7, first 2 shown]
.LBB0_19:
	s_or_b64 exec, exec, s[2:3]
	s_and_saveexec_b64 s[2:3], s[0:1]
	s_cbranch_execz .LBB0_21
; %bb.20:
	s_waitcnt lgkmcnt(3)
	v_mul_f64 v[56:57], v[30:31], v[16:17]
	v_mul_f64 v[58:59], v[34:35], v[10:11]
	;; [unrolled: 1-line block ×3, first 2 shown]
	s_waitcnt lgkmcnt(2)
	v_mul_f64 v[64:65], v[46:47], v[20:21]
	v_mul_f64 v[66:67], v[26:27], v[14:15]
	s_waitcnt lgkmcnt(1)
	v_mul_f64 v[60:61], v[50:51], v[54:55]
	s_waitcnt lgkmcnt(0)
	v_mul_f64 v[72:73], v[42:43], v[70:71]
	v_mul_f64 v[38:39], v[38:39], v[6:7]
	v_fma_f64 v[56:57], v[28:29], v[18:19], -v[56:57]
	v_fma_f64 v[58:59], v[32:33], v[8:9], v[58:59]
	v_mul_f64 v[8:9], v[34:35], v[8:9]
	v_fma_f64 v[6:7], v[36:37], v[6:7], -v[62:63]
	v_fma_f64 v[34:35], v[44:45], v[22:23], -v[64:65]
	v_fma_f64 v[62:63], v[24:25], v[12:13], v[66:67]
	v_mul_f64 v[50:51], v[50:51], v[52:53]
	v_mul_f64 v[22:23], v[46:47], v[22:23]
	;; [unrolled: 1-line block ×5, first 2 shown]
	v_fma_f64 v[60:61], v[48:49], v[52:53], v[60:61]
	v_fma_f64 v[46:47], v[40:41], v[68:69], v[72:73]
	v_fma_f64 v[4:5], v[36:37], v[4:5], v[38:39]
	v_fma_f64 v[8:9], v[32:33], v[10:11], -v[8:9]
	v_fma_f64 v[10:11], v[48:49], v[54:55], -v[50:51]
	v_fma_f64 v[20:21], v[44:45], v[20:21], v[22:23]
	v_fma_f64 v[16:17], v[28:29], v[16:17], v[18:19]
	v_fma_f64 v[12:13], v[24:25], v[14:15], -v[12:13]
	v_fma_f64 v[14:15], v[40:41], v[70:71], -v[26:27]
	v_add_f64 v[56:57], v[2:3], -v[56:57]
	v_add_f64 v[60:61], v[58:59], -v[60:61]
	;; [unrolled: 1-line block ×8, first 2 shown]
	v_fma_f64 v[2:3], v[2:3], 2.0, -v[56:57]
	v_fma_f64 v[28:29], v[58:59], 2.0, -v[60:61]
	v_fma_f64 v[6:7], v[6:7], 2.0, -v[22:23]
	v_add_f64 v[26:27], v[22:23], -v[18:19]
	v_fma_f64 v[8:9], v[8:9], 2.0, -v[10:11]
	v_fma_f64 v[4:5], v[4:5], 2.0, -v[20:21]
	;; [unrolled: 1-line block ×5, first 2 shown]
	v_add_f64 v[24:25], v[56:57], -v[60:61]
	v_add_f64 v[14:15], v[14:15], v[20:21]
	v_add_f64 v[32:33], v[10:11], v[16:17]
	v_add_f64 v[34:35], v[2:3], -v[8:9]
	s_mov_b32 s8, 0x667f3bcd
	v_add_f64 v[8:9], v[4:5], -v[18:19]
	v_add_f64 v[36:37], v[0:1], -v[28:29]
	;; [unrolled: 1-line block ×3, first 2 shown]
	v_fma_f64 v[28:29], v[56:57], 2.0, -v[24:25]
	v_fma_f64 v[12:13], v[22:23], 2.0, -v[26:27]
	;; [unrolled: 1-line block ×4, first 2 shown]
	s_mov_b32 s9, 0x3fe6a09e
	v_fma_f64 v[30:31], v[26:27], s[8:9], v[24:25]
	s_mov_b32 s11, 0xbfe6a09e
	s_mov_b32 s10, s8
	v_fma_f64 v[38:39], v[2:3], 2.0, -v[34:35]
	v_fma_f64 v[10:11], v[6:7], 2.0, -v[18:19]
	;; [unrolled: 1-line block ×4, first 2 shown]
	v_fma_f64 v[4:5], v[12:13], s[10:11], v[28:29]
	v_fma_f64 v[22:23], v[20:21], s[10:11], v[16:17]
	;; [unrolled: 1-line block ×4, first 2 shown]
	v_add_f64 v[6:7], v[34:35], -v[8:9]
	v_add_f64 v[10:11], v[38:39], -v[10:11]
	;; [unrolled: 1-line block ×3, first 2 shown]
	v_fma_f64 v[14:15], v[20:21], s[10:11], v[4:5]
	v_fma_f64 v[12:13], v[12:13], s[8:9], v[22:23]
	v_add_f64 v[4:5], v[36:37], v[18:19]
	v_fma_f64 v[0:1], v[26:27], s[8:9], v[42:43]
	v_fma_f64 v[18:19], v[24:25], 2.0, -v[2:3]
	v_fma_f64 v[26:27], v[38:39], 2.0, -v[10:11]
	;; [unrolled: 1-line block ×8, first 2 shown]
	ds_write_b128 v101, v[24:27]
	v_lshl_add_u32 v24, v97, 4, v100
	ds_write_b128 v24, v[28:31] offset:896
	ds_write_b128 v24, v[20:23] offset:1792
	;; [unrolled: 1-line block ×7, first 2 shown]
.LBB0_21:
	s_or_b64 exec, exec, s[2:3]
	s_waitcnt lgkmcnt(0)
	s_barrier
	s_and_b64 exec, exec, s[0:1]
	s_cbranch_execz .LBB0_23
; %bb.22:
	global_load_dwordx4 v[0:3], v99, s[14:15]
	global_load_dwordx4 v[4:7], v99, s[14:15] offset:896
	global_load_dwordx4 v[8:11], v99, s[14:15] offset:1792
	;; [unrolled: 1-line block ×4, first 2 shown]
	v_mad_u64_u32 v[56:57], s[0:1], s6, v84, 0
	v_mov_b32_e32 v20, s15
	v_add_co_u32_e32 v21, vcc, s14, v99
	s_movk_i32 s0, 0x1000
	v_addc_co_u32_e32 v20, vcc, 0, v20, vcc
	v_add_co_u32_e32 v52, vcc, s0, v21
	v_addc_co_u32_e32 v53, vcc, 0, v20, vcc
	global_load_dwordx4 v[20:23], v[52:53], off offset:384
	v_lshl_add_u32 v74, v98, 4, v99
	ds_read_b128 v[24:27], v101
	ds_read_b128 v[28:31], v74 offset:896
	ds_read_b128 v[32:35], v74 offset:1792
	;; [unrolled: 1-line block ×5, first 2 shown]
	global_load_dwordx4 v[48:51], v[52:53], off offset:1280
	v_mad_u64_u32 v[58:59], s[2:3], s4, v97, 0
	global_load_dwordx4 v[52:55], v[52:53], off offset:2176
	s_mul_i32 s2, s5, 0x380
	s_mul_hi_u32 s3, s4, 0x380
	s_add_i32 s6, s3, s2
	v_mad_u64_u32 v[60:61], s[2:3], s7, v84, v[57:58]
	v_mov_b32_e32 v63, s13
	s_mulk_i32 s4, 0x380
	v_mad_u64_u32 v[61:62], s[2:3], s5, v97, v[59:60]
	v_mov_b32_e32 v57, v60
	v_lshlrev_b64 v[56:57], 4, v[56:57]
	v_mov_b32_e32 v59, v61
	v_lshlrev_b64 v[58:59], 4, v[58:59]
	v_add_co_u32_e32 v56, vcc, s12, v56
	v_addc_co_u32_e32 v57, vcc, v63, v57, vcc
	v_add_co_u32_e32 v56, vcc, v56, v58
	v_addc_co_u32_e32 v57, vcc, v57, v59, vcc
	v_mov_b32_e32 v64, s6
	v_add_co_u32_e32 v58, vcc, s4, v56
	v_addc_co_u32_e32 v59, vcc, v57, v64, vcc
	v_mov_b32_e32 v62, s6
	;; [unrolled: 3-line block ×3, first 2 shown]
	v_add_co_u32_e32 v62, vcc, s4, v60
	v_addc_co_u32_e32 v63, vcc, v61, v65, vcc
	s_mov_b32 s0, 0x92492492
	s_mov_b32 s1, 0x3f624924
	s_waitcnt vmcnt(7) lgkmcnt(5)
	v_mul_f64 v[64:65], v[26:27], v[2:3]
	v_mul_f64 v[2:3], v[24:25], v[2:3]
	s_waitcnt vmcnt(6) lgkmcnt(4)
	v_mul_f64 v[66:67], v[30:31], v[6:7]
	v_mul_f64 v[6:7], v[28:29], v[6:7]
	;; [unrolled: 3-line block ×4, first 2 shown]
	v_fma_f64 v[24:25], v[24:25], v[0:1], v[64:65]
	v_fma_f64 v[2:3], v[0:1], v[26:27], -v[2:3]
	v_fma_f64 v[26:27], v[28:29], v[4:5], v[66:67]
	v_fma_f64 v[6:7], v[4:5], v[30:31], -v[6:7]
	;; [unrolled: 2-line block ×4, first 2 shown]
	v_mul_f64 v[0:1], v[24:25], s[0:1]
	v_mul_f64 v[2:3], v[2:3], s[0:1]
	;; [unrolled: 1-line block ×8, first 2 shown]
	s_waitcnt vmcnt(2) lgkmcnt(0)
	v_mul_f64 v[24:25], v[46:47], v[22:23]
	v_mul_f64 v[22:23], v[44:45], v[22:23]
	global_store_dwordx4 v[56:57], v[0:3], off
	global_store_dwordx4 v[58:59], v[4:7], off
	;; [unrolled: 1-line block ×4, first 2 shown]
	v_mul_f64 v[72:73], v[42:43], v[18:19]
	v_mul_f64 v[18:19], v[40:41], v[18:19]
	ds_read_b128 v[0:3], v74 offset:5376
	ds_read_b128 v[4:7], v74 offset:6272
	v_fma_f64 v[8:9], v[44:45], v[20:21], v[24:25]
	v_fma_f64 v[10:11], v[20:21], v[46:47], -v[22:23]
	v_mov_b32_e32 v13, s6
	s_waitcnt vmcnt(5) lgkmcnt(1)
	v_mul_f64 v[14:15], v[2:3], v[50:51]
	v_mul_f64 v[20:21], v[0:1], v[50:51]
	s_waitcnt vmcnt(4) lgkmcnt(0)
	v_mul_f64 v[22:23], v[6:7], v[54:55]
	v_mul_f64 v[24:25], v[4:5], v[54:55]
	v_fma_f64 v[32:33], v[40:41], v[16:17], v[72:73]
	v_fma_f64 v[18:19], v[16:17], v[42:43], -v[18:19]
	v_mul_f64 v[8:9], v[8:9], s[0:1]
	v_mul_f64 v[10:11], v[10:11], s[0:1]
	v_fma_f64 v[0:1], v[0:1], v[48:49], v[14:15]
	v_fma_f64 v[2:3], v[48:49], v[2:3], -v[20:21]
	v_fma_f64 v[4:5], v[4:5], v[52:53], v[22:23]
	v_fma_f64 v[6:7], v[52:53], v[6:7], -v[24:25]
	v_mul_f64 v[16:17], v[32:33], s[0:1]
	v_mul_f64 v[18:19], v[18:19], s[0:1]
	v_add_co_u32_e32 v12, vcc, s4, v62
	v_mul_f64 v[0:1], v[0:1], s[0:1]
	v_mul_f64 v[2:3], v[2:3], s[0:1]
	v_mul_f64 v[4:5], v[4:5], s[0:1]
	v_mul_f64 v[6:7], v[6:7], s[0:1]
	v_addc_co_u32_e32 v13, vcc, v63, v13, vcc
	global_store_dwordx4 v[12:13], v[16:19], off
	v_add_co_u32_e32 v12, vcc, s4, v12
	v_mov_b32_e32 v16, s6
	v_addc_co_u32_e32 v13, vcc, v13, v16, vcc
	global_store_dwordx4 v[12:13], v[8:11], off
	s_nop 0
	v_mov_b32_e32 v9, s6
	v_add_co_u32_e32 v8, vcc, s4, v12
	v_addc_co_u32_e32 v9, vcc, v13, v9, vcc
	global_store_dwordx4 v[8:9], v[0:3], off
	s_nop 0
	v_mov_b32_e32 v1, s6
	v_add_co_u32_e32 v0, vcc, s4, v8
	v_addc_co_u32_e32 v1, vcc, v9, v1, vcc
	global_store_dwordx4 v[0:1], v[4:7], off
.LBB0_23:
	s_endpgm
	.section	.rodata,"a",@progbits
	.p2align	6, 0x0
	.amdhsa_kernel bluestein_single_back_len448_dim1_dp_op_CI_CI
		.amdhsa_group_segment_fixed_size 14336
		.amdhsa_private_segment_fixed_size 0
		.amdhsa_kernarg_size 104
		.amdhsa_user_sgpr_count 6
		.amdhsa_user_sgpr_private_segment_buffer 1
		.amdhsa_user_sgpr_dispatch_ptr 0
		.amdhsa_user_sgpr_queue_ptr 0
		.amdhsa_user_sgpr_kernarg_segment_ptr 1
		.amdhsa_user_sgpr_dispatch_id 0
		.amdhsa_user_sgpr_flat_scratch_init 0
		.amdhsa_user_sgpr_private_segment_size 0
		.amdhsa_uses_dynamic_stack 0
		.amdhsa_system_sgpr_private_segment_wavefront_offset 0
		.amdhsa_system_sgpr_workgroup_id_x 1
		.amdhsa_system_sgpr_workgroup_id_y 0
		.amdhsa_system_sgpr_workgroup_id_z 0
		.amdhsa_system_sgpr_workgroup_info 0
		.amdhsa_system_vgpr_workitem_id 0
		.amdhsa_next_free_vgpr 120
		.amdhsa_next_free_sgpr 28
		.amdhsa_reserve_vcc 1
		.amdhsa_reserve_flat_scratch 0
		.amdhsa_float_round_mode_32 0
		.amdhsa_float_round_mode_16_64 0
		.amdhsa_float_denorm_mode_32 3
		.amdhsa_float_denorm_mode_16_64 3
		.amdhsa_dx10_clamp 1
		.amdhsa_ieee_mode 1
		.amdhsa_fp16_overflow 0
		.amdhsa_exception_fp_ieee_invalid_op 0
		.amdhsa_exception_fp_denorm_src 0
		.amdhsa_exception_fp_ieee_div_zero 0
		.amdhsa_exception_fp_ieee_overflow 0
		.amdhsa_exception_fp_ieee_underflow 0
		.amdhsa_exception_fp_ieee_inexact 0
		.amdhsa_exception_int_div_zero 0
	.end_amdhsa_kernel
	.text
.Lfunc_end0:
	.size	bluestein_single_back_len448_dim1_dp_op_CI_CI, .Lfunc_end0-bluestein_single_back_len448_dim1_dp_op_CI_CI
                                        ; -- End function
	.section	.AMDGPU.csdata,"",@progbits
; Kernel info:
; codeLenInByte = 7688
; NumSgprs: 32
; NumVgprs: 120
; ScratchSize: 0
; MemoryBound: 0
; FloatMode: 240
; IeeeMode: 1
; LDSByteSize: 14336 bytes/workgroup (compile time only)
; SGPRBlocks: 3
; VGPRBlocks: 29
; NumSGPRsForWavesPerEU: 32
; NumVGPRsForWavesPerEU: 120
; Occupancy: 2
; WaveLimiterHint : 1
; COMPUTE_PGM_RSRC2:SCRATCH_EN: 0
; COMPUTE_PGM_RSRC2:USER_SGPR: 6
; COMPUTE_PGM_RSRC2:TRAP_HANDLER: 0
; COMPUTE_PGM_RSRC2:TGID_X_EN: 1
; COMPUTE_PGM_RSRC2:TGID_Y_EN: 0
; COMPUTE_PGM_RSRC2:TGID_Z_EN: 0
; COMPUTE_PGM_RSRC2:TIDIG_COMP_CNT: 0
	.type	__hip_cuid_c4538774bdec5487,@object ; @__hip_cuid_c4538774bdec5487
	.section	.bss,"aw",@nobits
	.globl	__hip_cuid_c4538774bdec5487
__hip_cuid_c4538774bdec5487:
	.byte	0                               ; 0x0
	.size	__hip_cuid_c4538774bdec5487, 1

	.ident	"AMD clang version 19.0.0git (https://github.com/RadeonOpenCompute/llvm-project roc-6.4.0 25133 c7fe45cf4b819c5991fe208aaa96edf142730f1d)"
	.section	".note.GNU-stack","",@progbits
	.addrsig
	.addrsig_sym __hip_cuid_c4538774bdec5487
	.amdgpu_metadata
---
amdhsa.kernels:
  - .args:
      - .actual_access:  read_only
        .address_space:  global
        .offset:         0
        .size:           8
        .value_kind:     global_buffer
      - .actual_access:  read_only
        .address_space:  global
        .offset:         8
        .size:           8
        .value_kind:     global_buffer
      - .actual_access:  read_only
        .address_space:  global
        .offset:         16
        .size:           8
        .value_kind:     global_buffer
      - .actual_access:  read_only
        .address_space:  global
        .offset:         24
        .size:           8
        .value_kind:     global_buffer
      - .actual_access:  read_only
        .address_space:  global
        .offset:         32
        .size:           8
        .value_kind:     global_buffer
      - .offset:         40
        .size:           8
        .value_kind:     by_value
      - .address_space:  global
        .offset:         48
        .size:           8
        .value_kind:     global_buffer
      - .address_space:  global
        .offset:         56
        .size:           8
        .value_kind:     global_buffer
      - .address_space:  global
        .offset:         64
        .size:           8
        .value_kind:     global_buffer
      - .address_space:  global
        .offset:         72
        .size:           8
        .value_kind:     global_buffer
      - .offset:         80
        .size:           4
        .value_kind:     by_value
      - .address_space:  global
        .offset:         88
        .size:           8
        .value_kind:     global_buffer
      - .address_space:  global
        .offset:         96
        .size:           8
        .value_kind:     global_buffer
    .group_segment_fixed_size: 14336
    .kernarg_segment_align: 8
    .kernarg_segment_size: 104
    .language:       OpenCL C
    .language_version:
      - 2
      - 0
    .max_flat_workgroup_size: 128
    .name:           bluestein_single_back_len448_dim1_dp_op_CI_CI
    .private_segment_fixed_size: 0
    .sgpr_count:     32
    .sgpr_spill_count: 0
    .symbol:         bluestein_single_back_len448_dim1_dp_op_CI_CI.kd
    .uniform_work_group_size: 1
    .uses_dynamic_stack: false
    .vgpr_count:     120
    .vgpr_spill_count: 0
    .wavefront_size: 64
amdhsa.target:   amdgcn-amd-amdhsa--gfx906
amdhsa.version:
  - 1
  - 2
...

	.end_amdgpu_metadata
